;; amdgpu-corpus repo=ROCm/rocFFT kind=compiled arch=gfx1201 opt=O3
	.text
	.amdgcn_target "amdgcn-amd-amdhsa--gfx1201"
	.amdhsa_code_object_version 6
	.protected	fft_rtc_fwd_len780_factors_2_3_13_5_2_wgs_234_tpt_78_halfLds_dp_ip_CI_unitstride_sbrr_dirReg ; -- Begin function fft_rtc_fwd_len780_factors_2_3_13_5_2_wgs_234_tpt_78_halfLds_dp_ip_CI_unitstride_sbrr_dirReg
	.globl	fft_rtc_fwd_len780_factors_2_3_13_5_2_wgs_234_tpt_78_halfLds_dp_ip_CI_unitstride_sbrr_dirReg
	.p2align	8
	.type	fft_rtc_fwd_len780_factors_2_3_13_5_2_wgs_234_tpt_78_halfLds_dp_ip_CI_unitstride_sbrr_dirReg,@function
fft_rtc_fwd_len780_factors_2_3_13_5_2_wgs_234_tpt_78_halfLds_dp_ip_CI_unitstride_sbrr_dirReg: ; @fft_rtc_fwd_len780_factors_2_3_13_5_2_wgs_234_tpt_78_halfLds_dp_ip_CI_unitstride_sbrr_dirReg
; %bb.0:
	s_load_b128 s[4:7], s[0:1], 0x0
	v_mul_u32_u24_e32 v1, 0x349, v0
	s_clause 0x1
	s_load_b64 s[8:9], s[0:1], 0x50
	s_load_b64 s[10:11], s[0:1], 0x18
	v_mov_b32_e32 v3, 0
	v_lshrrev_b32_e32 v1, 16, v1
	s_delay_alu instid0(VALU_DEP_1) | instskip(SKIP_1) | instid1(VALU_DEP_4)
	v_mad_co_u64_u32 v[44:45], null, ttmp9, 3, v[1:2]
	v_mov_b32_e32 v1, 0
	v_dual_mov_b32 v2, 0 :: v_dual_mov_b32 v45, v3
	s_delay_alu instid0(VALU_DEP_1) | instskip(SKIP_2) | instid1(VALU_DEP_1)
	v_dual_mov_b32 v7, v44 :: v_dual_mov_b32 v8, v45
	s_wait_kmcnt 0x0
	v_cmp_lt_u64_e64 s2, s[6:7], 2
	s_and_b32 vcc_lo, exec_lo, s2
	s_cbranch_vccnz .LBB0_8
; %bb.1:
	s_load_b64 s[2:3], s[0:1], 0x10
	v_mov_b32_e32 v1, 0
	v_dual_mov_b32 v2, 0 :: v_dual_mov_b32 v5, v44
	v_mov_b32_e32 v6, v45
	s_add_nc_u64 s[12:13], s[10:11], 8
	s_mov_b64 s[14:15], 1
	s_wait_kmcnt 0x0
	s_add_nc_u64 s[16:17], s[2:3], 8
	s_mov_b32 s3, 0
.LBB0_2:                                ; =>This Inner Loop Header: Depth=1
	s_load_b64 s[18:19], s[16:17], 0x0
                                        ; implicit-def: $vgpr7_vgpr8
	s_mov_b32 s2, exec_lo
	s_wait_kmcnt 0x0
	v_or_b32_e32 v4, s19, v6
	s_delay_alu instid0(VALU_DEP_1)
	v_cmpx_ne_u64_e32 0, v[3:4]
	s_wait_alu 0xfffe
	s_xor_b32 s20, exec_lo, s2
	s_cbranch_execz .LBB0_4
; %bb.3:                                ;   in Loop: Header=BB0_2 Depth=1
	s_cvt_f32_u32 s2, s18
	s_cvt_f32_u32 s21, s19
	s_sub_nc_u64 s[24:25], 0, s[18:19]
	s_wait_alu 0xfffe
	s_delay_alu instid0(SALU_CYCLE_1) | instskip(SKIP_1) | instid1(SALU_CYCLE_2)
	s_fmamk_f32 s2, s21, 0x4f800000, s2
	s_wait_alu 0xfffe
	v_s_rcp_f32 s2, s2
	s_delay_alu instid0(TRANS32_DEP_1) | instskip(SKIP_1) | instid1(SALU_CYCLE_2)
	s_mul_f32 s2, s2, 0x5f7ffffc
	s_wait_alu 0xfffe
	s_mul_f32 s21, s2, 0x2f800000
	s_wait_alu 0xfffe
	s_delay_alu instid0(SALU_CYCLE_2) | instskip(SKIP_1) | instid1(SALU_CYCLE_2)
	s_trunc_f32 s21, s21
	s_wait_alu 0xfffe
	s_fmamk_f32 s2, s21, 0xcf800000, s2
	s_cvt_u32_f32 s23, s21
	s_wait_alu 0xfffe
	s_delay_alu instid0(SALU_CYCLE_1) | instskip(SKIP_1) | instid1(SALU_CYCLE_2)
	s_cvt_u32_f32 s22, s2
	s_wait_alu 0xfffe
	s_mul_u64 s[26:27], s[24:25], s[22:23]
	s_wait_alu 0xfffe
	s_mul_hi_u32 s29, s22, s27
	s_mul_i32 s28, s22, s27
	s_mul_hi_u32 s2, s22, s26
	s_mul_i32 s30, s23, s26
	s_wait_alu 0xfffe
	s_add_nc_u64 s[28:29], s[2:3], s[28:29]
	s_mul_hi_u32 s21, s23, s26
	s_mul_hi_u32 s31, s23, s27
	s_add_co_u32 s2, s28, s30
	s_wait_alu 0xfffe
	s_add_co_ci_u32 s2, s29, s21
	s_mul_i32 s26, s23, s27
	s_add_co_ci_u32 s27, s31, 0
	s_wait_alu 0xfffe
	s_add_nc_u64 s[26:27], s[2:3], s[26:27]
	s_wait_alu 0xfffe
	v_add_co_u32 v4, s2, s22, s26
	s_delay_alu instid0(VALU_DEP_1) | instskip(SKIP_1) | instid1(VALU_DEP_1)
	s_cmp_lg_u32 s2, 0
	s_add_co_ci_u32 s23, s23, s27
	v_readfirstlane_b32 s22, v4
	s_wait_alu 0xfffe
	s_delay_alu instid0(VALU_DEP_1)
	s_mul_u64 s[24:25], s[24:25], s[22:23]
	s_wait_alu 0xfffe
	s_mul_hi_u32 s27, s22, s25
	s_mul_i32 s26, s22, s25
	s_mul_hi_u32 s2, s22, s24
	s_mul_i32 s28, s23, s24
	s_wait_alu 0xfffe
	s_add_nc_u64 s[26:27], s[2:3], s[26:27]
	s_mul_hi_u32 s21, s23, s24
	s_mul_hi_u32 s22, s23, s25
	s_wait_alu 0xfffe
	s_add_co_u32 s2, s26, s28
	s_add_co_ci_u32 s2, s27, s21
	s_mul_i32 s24, s23, s25
	s_add_co_ci_u32 s25, s22, 0
	s_wait_alu 0xfffe
	s_add_nc_u64 s[24:25], s[2:3], s[24:25]
	s_wait_alu 0xfffe
	v_add_co_u32 v4, s2, v4, s24
	s_delay_alu instid0(VALU_DEP_1) | instskip(SKIP_1) | instid1(VALU_DEP_1)
	s_cmp_lg_u32 s2, 0
	s_add_co_ci_u32 s2, s23, s25
	v_mul_hi_u32 v13, v5, v4
	s_wait_alu 0xfffe
	v_mad_co_u64_u32 v[7:8], null, v5, s2, 0
	v_mad_co_u64_u32 v[9:10], null, v6, v4, 0
	;; [unrolled: 1-line block ×3, first 2 shown]
	s_delay_alu instid0(VALU_DEP_3) | instskip(SKIP_1) | instid1(VALU_DEP_4)
	v_add_co_u32 v4, vcc_lo, v13, v7
	s_wait_alu 0xfffd
	v_add_co_ci_u32_e32 v7, vcc_lo, 0, v8, vcc_lo
	s_delay_alu instid0(VALU_DEP_2) | instskip(SKIP_1) | instid1(VALU_DEP_2)
	v_add_co_u32 v4, vcc_lo, v4, v9
	s_wait_alu 0xfffd
	v_add_co_ci_u32_e32 v4, vcc_lo, v7, v10, vcc_lo
	s_wait_alu 0xfffd
	v_add_co_ci_u32_e32 v7, vcc_lo, 0, v12, vcc_lo
	s_delay_alu instid0(VALU_DEP_2) | instskip(SKIP_1) | instid1(VALU_DEP_2)
	v_add_co_u32 v4, vcc_lo, v4, v11
	s_wait_alu 0xfffd
	v_add_co_ci_u32_e32 v9, vcc_lo, 0, v7, vcc_lo
	s_delay_alu instid0(VALU_DEP_2) | instskip(SKIP_1) | instid1(VALU_DEP_3)
	v_mul_lo_u32 v10, s19, v4
	v_mad_co_u64_u32 v[7:8], null, s18, v4, 0
	v_mul_lo_u32 v11, s18, v9
	s_delay_alu instid0(VALU_DEP_2) | instskip(NEXT) | instid1(VALU_DEP_2)
	v_sub_co_u32 v7, vcc_lo, v5, v7
	v_add3_u32 v8, v8, v11, v10
	s_delay_alu instid0(VALU_DEP_1) | instskip(SKIP_1) | instid1(VALU_DEP_1)
	v_sub_nc_u32_e32 v10, v6, v8
	s_wait_alu 0xfffd
	v_subrev_co_ci_u32_e64 v10, s2, s19, v10, vcc_lo
	v_add_co_u32 v11, s2, v4, 2
	s_wait_alu 0xf1ff
	v_add_co_ci_u32_e64 v12, s2, 0, v9, s2
	v_sub_co_u32 v13, s2, v7, s18
	v_sub_co_ci_u32_e32 v8, vcc_lo, v6, v8, vcc_lo
	s_wait_alu 0xf1ff
	v_subrev_co_ci_u32_e64 v10, s2, 0, v10, s2
	s_delay_alu instid0(VALU_DEP_3) | instskip(NEXT) | instid1(VALU_DEP_3)
	v_cmp_le_u32_e32 vcc_lo, s18, v13
	v_cmp_eq_u32_e64 s2, s19, v8
	s_wait_alu 0xfffd
	v_cndmask_b32_e64 v13, 0, -1, vcc_lo
	v_cmp_le_u32_e32 vcc_lo, s19, v10
	s_wait_alu 0xfffd
	v_cndmask_b32_e64 v14, 0, -1, vcc_lo
	v_cmp_le_u32_e32 vcc_lo, s18, v7
	;; [unrolled: 3-line block ×3, first 2 shown]
	s_wait_alu 0xfffd
	v_cndmask_b32_e64 v15, 0, -1, vcc_lo
	v_cmp_eq_u32_e32 vcc_lo, s19, v10
	s_wait_alu 0xf1ff
	s_delay_alu instid0(VALU_DEP_2)
	v_cndmask_b32_e64 v7, v15, v7, s2
	s_wait_alu 0xfffd
	v_cndmask_b32_e32 v10, v14, v13, vcc_lo
	v_add_co_u32 v13, vcc_lo, v4, 1
	s_wait_alu 0xfffd
	v_add_co_ci_u32_e32 v14, vcc_lo, 0, v9, vcc_lo
	s_delay_alu instid0(VALU_DEP_3) | instskip(SKIP_2) | instid1(VALU_DEP_3)
	v_cmp_ne_u32_e32 vcc_lo, 0, v10
	s_wait_alu 0xfffd
	v_cndmask_b32_e32 v10, v13, v11, vcc_lo
	v_cndmask_b32_e32 v8, v14, v12, vcc_lo
	v_cmp_ne_u32_e32 vcc_lo, 0, v7
	s_wait_alu 0xfffd
	s_delay_alu instid0(VALU_DEP_2)
	v_dual_cndmask_b32 v7, v4, v10 :: v_dual_cndmask_b32 v8, v9, v8
.LBB0_4:                                ;   in Loop: Header=BB0_2 Depth=1
	s_wait_alu 0xfffe
	s_and_not1_saveexec_b32 s2, s20
	s_cbranch_execz .LBB0_6
; %bb.5:                                ;   in Loop: Header=BB0_2 Depth=1
	v_cvt_f32_u32_e32 v4, s18
	s_sub_co_i32 s20, 0, s18
	s_delay_alu instid0(VALU_DEP_1) | instskip(NEXT) | instid1(TRANS32_DEP_1)
	v_rcp_iflag_f32_e32 v4, v4
	v_mul_f32_e32 v4, 0x4f7ffffe, v4
	s_delay_alu instid0(VALU_DEP_1) | instskip(SKIP_1) | instid1(VALU_DEP_1)
	v_cvt_u32_f32_e32 v4, v4
	s_wait_alu 0xfffe
	v_mul_lo_u32 v7, s20, v4
	s_delay_alu instid0(VALU_DEP_1) | instskip(NEXT) | instid1(VALU_DEP_1)
	v_mul_hi_u32 v7, v4, v7
	v_add_nc_u32_e32 v4, v4, v7
	s_delay_alu instid0(VALU_DEP_1) | instskip(NEXT) | instid1(VALU_DEP_1)
	v_mul_hi_u32 v4, v5, v4
	v_mul_lo_u32 v7, v4, s18
	v_add_nc_u32_e32 v8, 1, v4
	s_delay_alu instid0(VALU_DEP_2) | instskip(NEXT) | instid1(VALU_DEP_1)
	v_sub_nc_u32_e32 v7, v5, v7
	v_subrev_nc_u32_e32 v9, s18, v7
	v_cmp_le_u32_e32 vcc_lo, s18, v7
	s_wait_alu 0xfffd
	s_delay_alu instid0(VALU_DEP_2) | instskip(NEXT) | instid1(VALU_DEP_1)
	v_dual_cndmask_b32 v7, v7, v9 :: v_dual_cndmask_b32 v4, v4, v8
	v_cmp_le_u32_e32 vcc_lo, s18, v7
	s_delay_alu instid0(VALU_DEP_2) | instskip(SKIP_1) | instid1(VALU_DEP_1)
	v_add_nc_u32_e32 v8, 1, v4
	s_wait_alu 0xfffd
	v_dual_cndmask_b32 v7, v4, v8 :: v_dual_mov_b32 v8, v3
.LBB0_6:                                ;   in Loop: Header=BB0_2 Depth=1
	s_wait_alu 0xfffe
	s_or_b32 exec_lo, exec_lo, s2
	s_load_b64 s[20:21], s[12:13], 0x0
	s_delay_alu instid0(VALU_DEP_1)
	v_mul_lo_u32 v4, v8, s18
	v_mul_lo_u32 v11, v7, s19
	v_mad_co_u64_u32 v[9:10], null, v7, s18, 0
	s_add_nc_u64 s[14:15], s[14:15], 1
	s_add_nc_u64 s[12:13], s[12:13], 8
	s_wait_alu 0xfffe
	v_cmp_ge_u64_e64 s2, s[14:15], s[6:7]
	s_add_nc_u64 s[16:17], s[16:17], 8
	s_delay_alu instid0(VALU_DEP_2) | instskip(NEXT) | instid1(VALU_DEP_3)
	v_add3_u32 v4, v10, v11, v4
	v_sub_co_u32 v5, vcc_lo, v5, v9
	s_wait_alu 0xfffd
	s_delay_alu instid0(VALU_DEP_2) | instskip(SKIP_3) | instid1(VALU_DEP_2)
	v_sub_co_ci_u32_e32 v4, vcc_lo, v6, v4, vcc_lo
	s_and_b32 vcc_lo, exec_lo, s2
	s_wait_kmcnt 0x0
	v_mul_lo_u32 v6, s21, v5
	v_mul_lo_u32 v4, s20, v4
	v_mad_co_u64_u32 v[1:2], null, s20, v5, v[1:2]
	s_delay_alu instid0(VALU_DEP_1)
	v_add3_u32 v2, v6, v2, v4
	s_wait_alu 0xfffe
	s_cbranch_vccnz .LBB0_8
; %bb.7:                                ;   in Loop: Header=BB0_2 Depth=1
	v_dual_mov_b32 v5, v7 :: v_dual_mov_b32 v6, v8
	s_branch .LBB0_2
.LBB0_8:
	s_lshl_b64 s[2:3], s[6:7], 3
	v_mul_hi_u32 v5, 0x3483484, v0
	s_wait_alu 0xfffe
	s_add_nc_u64 s[2:3], s[10:11], s[2:3]
                                        ; implicit-def: $vgpr38_vgpr39
                                        ; implicit-def: $vgpr30_vgpr31
                                        ; implicit-def: $vgpr34_vgpr35
                                        ; implicit-def: $vgpr22_vgpr23
                                        ; implicit-def: $vgpr26_vgpr27
                                        ; implicit-def: $vgpr18_vgpr19
                                        ; implicit-def: $vgpr14_vgpr15
                                        ; implicit-def: $vgpr10_vgpr11
                                        ; implicit-def: $vgpr42_vgpr43
	s_load_b64 s[2:3], s[2:3], 0x0
	s_load_b64 s[0:1], s[0:1], 0x20
	s_wait_kmcnt 0x0
	v_mul_lo_u32 v3, s2, v8
	v_mul_lo_u32 v4, s3, v7
	v_mad_co_u64_u32 v[1:2], null, s2, v7, v[1:2]
	v_cmp_gt_u64_e32 vcc_lo, s[0:1], v[7:8]
	s_delay_alu instid0(VALU_DEP_2) | instskip(SKIP_1) | instid1(VALU_DEP_2)
	v_add3_u32 v2, v4, v2, v3
	v_mul_u32_u24_e32 v3, 0x4e, v5
	v_lshlrev_b64_e32 v[60:61], 4, v[1:2]
	s_delay_alu instid0(VALU_DEP_2)
	v_sub_nc_u32_e32 v62, v0, v3
                                        ; implicit-def: $vgpr2_vgpr3
	s_and_saveexec_b32 s1, vcc_lo
; %bb.9:
	v_mov_b32_e32 v63, 0
	s_delay_alu instid0(VALU_DEP_3) | instskip(SKIP_2) | instid1(VALU_DEP_3)
	v_add_co_u32 v2, s0, s8, v60
	s_wait_alu 0xf1ff
	v_add_co_ci_u32_e64 v3, s0, s9, v61, s0
	v_lshlrev_b64_e32 v[0:1], 4, v[62:63]
	s_delay_alu instid0(VALU_DEP_1) | instskip(SKIP_1) | instid1(VALU_DEP_2)
	v_add_co_u32 v4, s0, v2, v0
	s_wait_alu 0xf1ff
	v_add_co_ci_u32_e64 v5, s0, v3, v1, s0
	s_clause 0x9
	global_load_b128 v[0:3], v[4:5], off
	global_load_b128 v[8:11], v[4:5], off offset:1248
	global_load_b128 v[12:15], v[4:5], off offset:7488
	;; [unrolled: 1-line block ×9, first 2 shown]
; %bb.10:
	s_wait_alu 0xfffe
	s_or_b32 exec_lo, exec_lo, s1
	s_wait_loadcnt 0x3
	v_add_f64_e64 v[47:48], v[0:1], -v[40:41]
	v_add_f64_e64 v[51:52], v[8:9], -v[12:13]
	;; [unrolled: 1-line block ×3, first 2 shown]
	s_wait_loadcnt 0x1
	v_add_f64_e64 v[65:66], v[20:21], -v[32:33]
	s_wait_loadcnt 0x0
	v_add_f64_e64 v[6:7], v[28:29], -v[36:37]
	v_mul_hi_u32 v4, 0xaaaaaaab, v44
	v_add_nc_u32_e32 v76, 0x4e, v62
	v_add_nc_u32_e32 v77, 0x9c, v62
	;; [unrolled: 1-line block ×4, first 2 shown]
	v_cmp_gt_u32_e64 s1, 26, v62
	v_lshrrev_b32_e32 v4, 1, v4
	s_delay_alu instid0(VALU_DEP_1)
	v_lshl_add_u32 v12, v4, 1, v4
	v_fma_f64 v[45:46], v[0:1], 2.0, -v[47:48]
	v_fma_f64 v[49:50], v[8:9], 2.0, -v[51:52]
	;; [unrolled: 1-line block ×5, first 2 shown]
	v_sub_nc_u32_e32 v0, v44, v12
                                        ; implicit-def: $vgpr16_vgpr17
                                        ; implicit-def: $vgpr20_vgpr21
	s_delay_alu instid0(VALU_DEP_1) | instskip(NEXT) | instid1(VALU_DEP_1)
	v_mul_u32_u24_e32 v0, 0x30c, v0
	v_lshlrev_b32_e32 v78, 3, v0
	v_lshlrev_b32_e32 v0, 3, v62
	s_delay_alu instid0(VALU_DEP_2) | instskip(NEXT) | instid1(VALU_DEP_2)
	v_add_nc_u32_e32 v1, 0, v78
	v_add3_u32 v74, 0, v0, v78
	s_delay_alu instid0(VALU_DEP_2) | instskip(SKIP_2) | instid1(VALU_DEP_4)
	v_lshl_add_u32 v28, v62, 4, v1
	v_add_nc_u32_e32 v75, v1, v0
	v_lshl_add_u32 v13, v76, 4, v1
	v_add_nc_u32_e32 v0, 0x800, v74
	v_lshl_add_u32 v12, v77, 4, v1
	v_lshl_add_u32 v9, v80, 4, v1
	;; [unrolled: 1-line block ×3, first 2 shown]
	v_add_nc_u32_e32 v1, 0xc00, v74
	v_add_nc_u32_e32 v32, 0x1000, v74
	ds_store_b128 v28, v[45:48]
	ds_store_b128 v13, v[49:52]
	;; [unrolled: 1-line block ×5, first 2 shown]
	global_wb scope:SCOPE_SE
	s_wait_dscnt 0x0
	s_barrier_signal -1
	s_barrier_wait -1
	global_inv scope:SCOPE_SE
	ds_load_b64 v[4:5], v75
	ds_load_2addr_b64 v[52:55], v0 offset0:4 offset1:82
	ds_load_2addr_b64 v[48:51], v1 offset0:32 offset1:136
	;; [unrolled: 1-line block ×4, first 2 shown]
	s_and_saveexec_b32 s0, s1
	s_cbranch_execz .LBB0_12
; %bb.11:
	ds_load_b64 v[6:7], v74 offset:1872
	ds_load_b64 v[20:21], v74 offset:3952
	;; [unrolled: 1-line block ×3, first 2 shown]
.LBB0_12:
	s_wait_alu 0xfffe
	s_or_b32 exec_lo, exec_lo, s0
	v_add_f64_e64 v[36:37], v[2:3], -v[42:43]
	v_add_f64_e64 v[40:41], v[10:11], -v[14:15]
	v_add_f64_e64 v[65:66], v[18:19], -v[26:27]
	v_add_f64_e64 v[69:70], v[22:23], -v[34:35]
	v_add_f64_e64 v[24:25], v[30:31], -v[38:39]
	global_wb scope:SCOPE_SE
	s_wait_dscnt 0x0
	s_barrier_signal -1
	s_barrier_wait -1
	global_inv scope:SCOPE_SE
	v_fma_f64 v[34:35], v[2:3], 2.0, -v[36:37]
	v_fma_f64 v[38:39], v[10:11], 2.0, -v[40:41]
	;; [unrolled: 1-line block ×5, first 2 shown]
                                        ; implicit-def: $vgpr18_vgpr19
	ds_store_b128 v28, v[34:37]
	ds_store_b128 v13, v[38:41]
	;; [unrolled: 1-line block ×5, first 2 shown]
	global_wb scope:SCOPE_SE
	s_wait_dscnt 0x0
	s_barrier_signal -1
	s_barrier_wait -1
	global_inv scope:SCOPE_SE
	ds_load_b64 v[30:31], v75
	ds_load_2addr_b64 v[12:15], v0 offset0:4 offset1:82
	ds_load_2addr_b64 v[8:11], v1 offset0:32 offset1:136
	;; [unrolled: 1-line block ×4, first 2 shown]
                                        ; implicit-def: $vgpr22_vgpr23
	s_and_saveexec_b32 s0, s1
	s_cbranch_execz .LBB0_14
; %bb.13:
	ds_load_b64 v[24:25], v74 offset:1872
	ds_load_b64 v[22:23], v74 offset:3952
	ds_load_b64 v[18:19], v74 offset:6032
.LBB0_14:
	s_wait_alu 0xfffe
	s_or_b32 exec_lo, exec_lo, s0
	v_and_b32_e32 v79, 1, v62
	s_mov_b32 s2, 0xe8584caa
	s_mov_b32 s3, 0x3febb67a
	;; [unrolled: 1-line block ×3, first 2 shown]
	s_wait_alu 0xfffe
	s_mov_b32 s6, s2
	v_lshlrev_b32_e32 v32, 5, v79
	v_lshrrev_b32_e32 v77, 1, v77
	s_clause 0x1
	global_load_b128 v[69:72], v32, s[4:5]
	global_load_b128 v[81:84], v32, s[4:5] offset:16
	global_wb scope:SCOPE_SE
	s_wait_loadcnt_dscnt 0x0
	s_barrier_signal -1
	s_barrier_wait -1
	global_inv scope:SCOPE_SE
	v_mul_f64_e32 v[32:33], v[12:13], v[71:72]
	v_mul_f64_e32 v[34:35], v[10:11], v[83:84]
	;; [unrolled: 1-line block ×16, first 2 shown]
	v_fma_f64 v[63:64], v[52:53], v[69:70], -v[32:33]
	v_fma_f64 v[65:66], v[50:51], v[81:82], -v[34:35]
	;; [unrolled: 1-line block ×8, first 2 shown]
	v_fma_f64 v[56:57], v[12:13], v[69:70], v[89:90]
	v_fma_f64 v[32:33], v[10:11], v[81:82], v[91:92]
	v_fma_f64 v[58:59], v[14:15], v[69:70], v[93:94]
	v_fma_f64 v[34:35], v[0:1], v[81:82], v[95:96]
	v_fma_f64 v[67:68], v[8:9], v[69:70], v[97:98]
	v_fma_f64 v[54:55], v[2:3], v[81:82], v[99:100]
	v_fma_f64 v[71:72], v[22:23], v[69:70], v[71:72]
	v_fma_f64 v[69:70], v[18:19], v[81:82], v[83:84]
	v_add_f64_e32 v[12:13], v[4:5], v[63:64]
	v_add_f64_e32 v[0:1], v[63:64], v[65:66]
	;; [unrolled: 1-line block ×8, first 2 shown]
	v_add_f64_e64 v[14:15], v[56:57], -v[32:33]
	v_add_f64_e64 v[81:82], v[58:59], -v[34:35]
	;; [unrolled: 1-line block ×3, first 2 shown]
	v_add_f64_e32 v[52:53], v[12:13], v[65:66]
	v_fma_f64 v[4:5], v[0:1], -0.5, v[4:5]
	v_fma_f64 v[2:3], v[2:3], -0.5, v[44:45]
	v_add_f64_e64 v[44:45], v[67:68], -v[54:55]
	v_fma_f64 v[46:47], v[8:9], -0.5, v[46:47]
	v_add_f64_e32 v[8:9], v[16:17], v[50:51]
	v_fma_f64 v[85:86], v[10:11], -0.5, v[6:7]
	v_add_f64_e32 v[6:7], v[18:19], v[48:49]
	v_add_f64_e32 v[0:1], v[20:21], v[42:43]
	v_fma_f64 v[20:21], v[14:15], s[2:3], v[4:5]
	s_wait_alu 0xfffe
	v_fma_f64 v[22:23], v[14:15], s[6:7], v[4:5]
	v_fma_f64 v[10:11], v[81:82], s[2:3], v[2:3]
	;; [unrolled: 1-line block ×7, first 2 shown]
	v_lshrrev_b32_e32 v14, 1, v62
	v_lshrrev_b32_e32 v15, 1, v76
	v_mul_u32_u24_e32 v44, 6, v77
	v_lshrrev_b32_e32 v76, 1, v80
	s_delay_alu instid0(VALU_DEP_4) | instskip(NEXT) | instid1(VALU_DEP_4)
	v_mul_u32_u24_e32 v14, 6, v14
	v_mul_u32_u24_e32 v15, 6, v15
	s_delay_alu instid0(VALU_DEP_4) | instskip(NEXT) | instid1(VALU_DEP_3)
	v_or_b32_e32 v44, v44, v79
	v_or_b32_e32 v14, v14, v79
	s_delay_alu instid0(VALU_DEP_3) | instskip(NEXT) | instid1(VALU_DEP_3)
	v_or_b32_e32 v15, v15, v79
	v_lshlrev_b32_e32 v44, 3, v44
	s_delay_alu instid0(VALU_DEP_3) | instskip(NEXT) | instid1(VALU_DEP_3)
	v_lshlrev_b32_e32 v14, 3, v14
	v_lshlrev_b32_e32 v15, 3, v15
	s_delay_alu instid0(VALU_DEP_3) | instskip(NEXT) | instid1(VALU_DEP_3)
	v_add3_u32 v82, 0, v44, v78
	v_add3_u32 v80, 0, v14, v78
	s_delay_alu instid0(VALU_DEP_3)
	v_add3_u32 v81, 0, v15, v78
	ds_store_2addr_b64 v80, v[52:53], v[20:21] offset1:2
	ds_store_b64 v80, v[22:23] offset:32
	ds_store_2addr_b64 v81, v[8:9], v[10:11] offset1:2
	ds_store_b64 v81, v[4:5] offset:32
	;; [unrolled: 2-line block ×3, first 2 shown]
	s_and_saveexec_b32 s0, s1
	s_cbranch_execz .LBB0_16
; %bb.15:
	v_mul_u32_u24_e32 v14, 6, v76
	s_delay_alu instid0(VALU_DEP_1) | instskip(NEXT) | instid1(VALU_DEP_1)
	v_or_b32_e32 v14, v14, v79
	v_lshlrev_b32_e32 v14, 3, v14
	s_delay_alu instid0(VALU_DEP_1)
	v_add3_u32 v14, 0, v14, v78
	ds_store_2addr_b64 v14, v[0:1], v[2:3] offset1:2
	ds_store_b64 v14, v[12:13] offset:32
.LBB0_16:
	s_wait_alu 0xfffe
	s_or_b32 exec_lo, exec_lo, s0
	v_cmp_gt_u32_e64 s0, 60, v62
	global_wb scope:SCOPE_SE
	s_wait_dscnt 0x0
	s_barrier_signal -1
	s_barrier_wait -1
	global_inv scope:SCOPE_SE
	s_and_saveexec_b32 s2, s0
	s_cbranch_execz .LBB0_18
; %bb.17:
	v_add_nc_u32_e32 v0, 0x800, v74
	v_add_nc_u32_e32 v12, 0x1000, v74
	ds_load_b64 v[52:53], v75
	ds_load_2addr_b64 v[20:23], v74 offset0:60 offset1:120
	ds_load_2addr_b64 v[8:11], v74 offset0:180 offset1:240
	;; [unrolled: 1-line block ×6, first 2 shown]
.LBB0_18:
	s_wait_alu 0xfffe
	s_or_b32 exec_lo, exec_lo, s2
	v_add_f64_e32 v[44:45], v[56:57], v[32:33]
	v_add_f64_e32 v[46:47], v[58:59], v[34:35]
	;; [unrolled: 1-line block ×5, first 2 shown]
	v_add_f64_e64 v[63:64], v[63:64], -v[65:66]
	v_add_f64_e32 v[58:59], v[26:27], v[58:59]
	v_add_f64_e32 v[65:66], v[28:29], v[67:68]
	;; [unrolled: 1-line block ×3, first 2 shown]
	v_add_f64_e64 v[38:39], v[38:39], -v[50:51]
	v_add_f64_e64 v[50:51], v[40:41], -v[48:49]
	;; [unrolled: 1-line block ×3, first 2 shown]
	s_mov_b32 s2, 0xe8584caa
	s_mov_b32 s3, 0xbfebb67a
	;; [unrolled: 1-line block ×3, first 2 shown]
	s_wait_alu 0xfffe
	s_mov_b32 s6, s2
	global_wb scope:SCOPE_SE
	s_wait_dscnt 0x0
	s_barrier_signal -1
	s_barrier_wait -1
	global_inv scope:SCOPE_SE
	v_fma_f64 v[71:72], v[44:45], -0.5, v[30:31]
	v_fma_f64 v[26:27], v[46:47], -0.5, v[26:27]
	v_fma_f64 v[83:84], v[83:84], -0.5, v[28:29]
	v_fma_f64 v[85:86], v[85:86], -0.5, v[24:25]
	v_add_f64_e32 v[48:49], v[56:57], v[32:33]
	v_add_f64_e32 v[32:33], v[58:59], v[34:35]
	;; [unrolled: 1-line block ×4, first 2 shown]
	v_fma_f64 v[44:45], v[63:64], s[2:3], v[71:72]
	s_wait_alu 0xfffe
	v_fma_f64 v[46:47], v[63:64], s[6:7], v[71:72]
	v_fma_f64 v[34:35], v[38:39], s[2:3], v[26:27]
	;; [unrolled: 1-line block ×7, first 2 shown]
	ds_store_2addr_b64 v80, v[48:49], v[44:45] offset1:2
	ds_store_b64 v80, v[46:47] offset:32
	ds_store_2addr_b64 v81, v[32:33], v[34:35] offset1:2
	ds_store_b64 v81, v[28:29] offset:32
	;; [unrolled: 2-line block ×3, first 2 shown]
	s_and_saveexec_b32 s2, s1
	s_cbranch_execz .LBB0_20
; %bb.19:
	v_mul_u32_u24_e32 v38, 6, v76
	s_delay_alu instid0(VALU_DEP_1) | instskip(NEXT) | instid1(VALU_DEP_1)
	v_or_b32_e32 v38, v38, v79
	v_lshlrev_b32_e32 v38, 3, v38
	s_delay_alu instid0(VALU_DEP_1)
	v_add3_u32 v38, 0, v38, v78
	ds_store_2addr_b64 v38, v[24:25], v[26:27] offset1:2
	ds_store_b64 v38, v[36:37] offset:32
.LBB0_20:
	s_wait_alu 0xfffe
	s_or_b32 exec_lo, exec_lo, s2
	global_wb scope:SCOPE_SE
	s_wait_dscnt 0x0
	s_barrier_signal -1
	s_barrier_wait -1
	global_inv scope:SCOPE_SE
	s_and_saveexec_b32 s1, s0
	s_cbranch_execz .LBB0_22
; %bb.21:
	v_add_nc_u32_e32 v24, 0x800, v74
	v_add_nc_u32_e32 v36, 0x1000, v74
	ds_load_b64 v[48:49], v75
	ds_load_2addr_b64 v[44:47], v74 offset0:60 offset1:120
	ds_load_2addr_b64 v[32:35], v74 offset0:180 offset1:240
	;; [unrolled: 1-line block ×6, first 2 shown]
.LBB0_22:
	s_wait_alu 0xfffe
	s_or_b32 exec_lo, exec_lo, s1
	v_and_b32_e32 v50, 0xff, v62
	s_delay_alu instid0(VALU_DEP_1) | instskip(NEXT) | instid1(VALU_DEP_1)
	v_mul_lo_u16 v50, 0xab, v50
	v_lshrrev_b16 v139, 10, v50
	s_delay_alu instid0(VALU_DEP_1) | instskip(NEXT) | instid1(VALU_DEP_1)
	v_mul_lo_u16 v50, v139, 6
	v_sub_nc_u16 v50, v62, v50
	s_delay_alu instid0(VALU_DEP_1) | instskip(NEXT) | instid1(VALU_DEP_1)
	v_and_b32_e32 v140, 0xff, v50
	v_mul_u32_u24_e32 v50, 12, v140
	s_delay_alu instid0(VALU_DEP_1)
	v_lshlrev_b32_e32 v50, 4, v50
	s_clause 0xb
	global_load_b128 v[54:57], v50, s[4:5] offset:64
	global_load_b128 v[63:66], v50, s[4:5] offset:80
	;; [unrolled: 1-line block ×12, first 2 shown]
	global_wb scope:SCOPE_SE
	s_wait_loadcnt_dscnt 0x0
	s_barrier_signal -1
	s_barrier_wait -1
	global_inv scope:SCOPE_SE
	v_mul_f64_e32 v[50:51], v[44:45], v[56:57]
	v_mul_f64_e32 v[56:57], v[20:21], v[56:57]
	;; [unrolled: 1-line block ×24, first 2 shown]
	v_fma_f64 v[71:72], v[20:21], v[54:55], -v[50:51]
	v_fma_f64 v[67:68], v[44:45], v[54:55], v[56:57]
	v_fma_f64 v[69:70], v[22:23], v[63:64], -v[58:59]
	v_fma_f64 v[58:59], v[46:47], v[63:64], v[65:66]
	;; [unrolled: 2-line block ×12, first 2 shown]
	v_and_b32_e32 v79, 0xffff, v139
	v_lshlrev_b32_e32 v80, 3, v140
	s_and_saveexec_b32 s1, s0
	s_cbranch_execz .LBB0_24
; %bb.23:
	v_add_f64_e32 v[0:1], v[52:53], v[71:72]
	s_delay_alu instid0(VALU_DEP_4)
	v_add_f64_e64 v[4:5], v[67:68], -v[16:17]
	v_add_f64_e64 v[2:3], v[58:59], -v[18:19]
	;; [unrolled: 1-line block ×6, first 2 shown]
	s_mov_b32 s22, 0x66966769
	s_mov_b32 s24, 0x2ef20147
	;; [unrolled: 1-line block ×12, first 2 shown]
	s_wait_alu 0xfffe
	s_mov_b32 s28, s26
	s_mov_b32 s30, s22
	v_add_f64_e32 v[14:15], v[71:72], v[36:37]
	s_mov_b32 s3, 0x3fddbe06
	s_mov_b32 s2, 0x4267c47c
	s_mov_b32 s6, 0xebaa3ed8
	s_mov_b32 s10, 0x1ea71119
	s_mov_b32 s14, 0xd0032e0c
	s_mov_b32 s12, 0x93053d00
	s_mov_b32 s7, 0x3fbedb7d
	s_mov_b32 s35, 0x3fe5384d
	s_mov_b32 s11, 0x3fe22d96
	s_mov_b32 s34, s18
	s_mov_b32 s15, 0xbfe7f3cc
	s_mov_b32 s13, 0xbfef11f4
	v_add_f64_e32 v[99:100], v[69:70], v[26:27]
	s_mov_b32 s16, 0xe00740e9
	s_mov_b32 s17, 0x3fec55a7
	;; [unrolled: 1-line block ×3, first 2 shown]
	v_add_f64_e32 v[0:1], v[0:1], v[69:70]
	v_mul_f64_e32 v[81:82], s[20:21], v[4:5]
	v_mul_f64_e32 v[83:84], s[18:19], v[4:5]
	;; [unrolled: 1-line block ×5, first 2 shown]
	s_wait_alu 0xfffe
	v_mul_f64_e32 v[38:39], s[2:3], v[2:3]
	v_mul_f64_e32 v[85:86], s[2:3], v[6:7]
	;; [unrolled: 1-line block ×5, first 2 shown]
	s_mov_b32 s3, 0xbfddbe06
	v_mul_f64_e32 v[101:102], s[22:23], v[2:3]
	s_wait_alu 0xfffe
	v_mul_f64_e32 v[4:5], s[2:3], v[4:5]
	s_mov_b32 s2, 0xb2365da1
	s_mov_b32 s3, 0xbfd6b1d8
	v_mul_f64_e32 v[103:104], s[34:35], v[2:3]
	v_mul_f64_e32 v[105:106], s[20:21], v[2:3]
	;; [unrolled: 1-line block ×4, first 2 shown]
	s_mov_b32 s36, s24
	v_mul_f64_e32 v[121:122], s[18:19], v[6:7]
	v_mul_f64_e32 v[123:124], s[28:29], v[6:7]
	;; [unrolled: 1-line block ×5, first 2 shown]
	s_mov_b32 s37, 0x3fcea1e5
	s_mov_b32 s36, s20
	v_mul_f64_e32 v[143:144], s[30:31], v[10:11]
	s_wait_alu 0xfffe
	v_mul_f64_e32 v[141:142], s[36:37], v[10:11]
	v_mul_f64_e32 v[145:146], s[34:35], v[10:11]
	v_add_f64_e32 v[0:1], v[0:1], v[63:64]
	v_fma_f64 v[109:110], v[14:15], s[12:13], v[81:82]
	v_fma_f64 v[81:82], v[14:15], s[12:13], -v[81:82]
	v_fma_f64 v[111:112], v[14:15], s[14:15], v[83:84]
	v_fma_f64 v[83:84], v[14:15], s[14:15], -v[83:84]
	;; [unrolled: 2-line block ×3, first 2 shown]
	v_fma_f64 v[117:118], v[14:15], s[10:11], -v[91:92]
	v_fma_f64 v[87:88], v[14:15], s[2:3], -v[87:88]
	v_fma_f64 v[89:90], v[14:15], s[6:7], v[89:90]
	v_fma_f64 v[91:92], v[14:15], s[10:11], v[91:92]
	v_fma_f64 v[129:130], v[99:100], s[16:17], v[38:39]
	v_fma_f64 v[38:39], v[99:100], s[16:17], -v[38:39]
	v_fma_f64 v[119:120], v[14:15], s[16:17], -v[4:5]
	v_fma_f64 v[4:5], v[14:15], s[16:17], v[4:5]
	v_add_f64_e32 v[14:15], v[63:64], v[65:66]
	v_fma_f64 v[131:132], v[99:100], s[6:7], v[101:102]
	v_fma_f64 v[101:102], v[99:100], s[6:7], -v[101:102]
	v_fma_f64 v[133:134], v[99:100], s[14:15], v[103:104]
	v_fma_f64 v[103:104], v[99:100], s[14:15], -v[103:104]
	;; [unrolled: 2-line block ×5, first 2 shown]
	v_add_f64_e32 v[0:1], v[0:1], v[54:55]
	v_add_f64_e32 v[99:100], v[52:53], v[109:110]
	;; [unrolled: 1-line block ×14, first 2 shown]
	v_mul_f64_e32 v[119:120], s[26:27], v[10:11]
	v_mul_f64_e32 v[10:11], s[24:25], v[10:11]
	v_fma_f64 v[147:148], v[14:15], s[14:15], v[121:122]
	v_fma_f64 v[121:122], v[14:15], s[14:15], -v[121:122]
	v_fma_f64 v[149:150], v[14:15], s[10:11], v[123:124]
	v_fma_f64 v[123:124], v[14:15], s[10:11], -v[123:124]
	v_fma_f64 v[151:152], v[14:15], s[16:17], v[85:86]
	v_fma_f64 v[85:86], v[14:15], s[16:17], -v[85:86]
	v_fma_f64 v[153:154], v[14:15], s[2:3], v[125:126]
	v_fma_f64 v[125:126], v[14:15], s[2:3], -v[125:126]
	v_fma_f64 v[155:156], v[14:15], s[12:13], v[127:128]
	v_fma_f64 v[127:128], v[14:15], s[12:13], -v[127:128]
	v_fma_f64 v[157:158], v[14:15], s[6:7], v[6:7]
	v_fma_f64 v[6:7], v[14:15], s[6:7], -v[6:7]
	v_add_f64_e32 v[0:1], v[0:1], v[44:45]
	v_add_f64_e32 v[14:15], v[129:130], v[99:100]
	v_add_f64_e32 v[38:39], v[38:39], v[81:82]
	v_add_f64_e32 v[81:82], v[131:132], v[109:110]
	v_add_f64_e32 v[83:84], v[101:102], v[83:84]
	v_add_f64_e32 v[99:100], v[133:134], v[111:112]
	v_add_f64_e32 v[101:102], v[105:106], v[113:114]
	v_add_f64_e32 v[105:106], v[107:108], v[115:116]
	v_add_f64_e32 v[87:88], v[103:104], v[87:88]
	v_add_f64_e32 v[89:90], v[135:136], v[89:90]
	v_add_f64_e32 v[91:92], v[137:138], v[91:92]
	v_add_f64_e32 v[103:104], v[44:45], v[46:47]
	v_mul_f64_e32 v[107:108], s[24:25], v[8:9]
	v_add_f64_e32 v[2:3], v[2:3], v[117:118]
	v_add_f64_e32 v[4:5], v[139:140], v[4:5]
	v_mul_f64_e32 v[109:110], s[36:37], v[8:9]
	v_mul_f64_e32 v[111:112], s[28:29], v[8:9]
	;; [unrolled: 1-line block ×3, first 2 shown]
	v_fma_f64 v[115:116], v[52:53], s[10:11], v[119:120]
	v_fma_f64 v[117:118], v[52:53], s[10:11], -v[119:120]
	v_fma_f64 v[119:120], v[52:53], s[12:13], v[141:142]
	v_fma_f64 v[129:130], v[52:53], s[12:13], -v[141:142]
	;; [unrolled: 2-line block ×6, first 2 shown]
	v_mul_f64_e32 v[8:9], s[18:19], v[8:9]
	v_add_f64_e32 v[0:1], v[0:1], v[32:33]
	v_add_f64_e32 v[14:15], v[147:148], v[14:15]
	;; [unrolled: 1-line block ×11, first 2 shown]
	v_mul_f64_e32 v[91:92], s[22:23], v[12:13]
	v_mul_f64_e32 v[105:106], s[24:25], v[12:13]
	v_add_f64_e32 v[2:3], v[6:7], v[2:3]
	v_add_f64_e32 v[4:5], v[157:158], v[4:5]
	;; [unrolled: 1-line block ×3, first 2 shown]
	v_mul_f64_e32 v[121:122], s[26:27], v[12:13]
	v_mul_f64_e32 v[123:124], s[18:19], v[12:13]
	;; [unrolled: 1-line block ×3, first 2 shown]
	v_fma_f64 v[125:126], v[103:104], s[2:3], v[107:108]
	v_fma_f64 v[107:108], v[103:104], s[2:3], -v[107:108]
	v_fma_f64 v[127:128], v[103:104], s[16:17], v[93:94]
	v_fma_f64 v[93:94], v[103:104], s[16:17], -v[93:94]
	v_fma_f64 v[143:144], v[103:104], s[12:13], v[109:110]
	v_fma_f64 v[145:146], v[103:104], s[10:11], v[111:112]
	v_fma_f64 v[111:112], v[103:104], s[10:11], -v[111:112]
	v_fma_f64 v[147:148], v[103:104], s[6:7], v[113:114]
	v_fma_f64 v[113:114], v[103:104], s[6:7], -v[113:114]
	v_fma_f64 v[109:110], v[103:104], s[12:13], -v[109:110]
	v_fma_f64 v[149:150], v[103:104], s[14:15], v[8:9]
	v_fma_f64 v[8:9], v[103:104], s[14:15], -v[8:9]
	v_add_f64_e32 v[0:1], v[0:1], v[30:31]
	v_add_f64_e32 v[14:15], v[115:116], v[14:15]
	;; [unrolled: 1-line block ×13, first 2 shown]
	v_fma_f64 v[10:11], v[6:7], s[6:7], v[91:92]
	v_fma_f64 v[91:92], v[6:7], s[6:7], -v[91:92]
	v_fma_f64 v[101:102], v[6:7], s[2:3], v[105:106]
	v_fma_f64 v[103:104], v[6:7], s[2:3], -v[105:106]
	;; [unrolled: 2-line block ×6, first 2 shown]
	v_add_f64_e32 v[0:1], v[0:1], v[46:47]
	v_add_f64_e32 v[12:13], v[125:126], v[14:15]
	;; [unrolled: 1-line block ×26, first 2 shown]
	v_mad_u32_u24 v6, 0x270, v79, 0
	s_delay_alu instid0(VALU_DEP_1) | instskip(SKIP_1) | instid1(VALU_DEP_1)
	v_add3_u32 v6, v6, v80, v78
	v_add_f64_e32 v[0:1], v[0:1], v[65:66]
	v_add_f64_e32 v[0:1], v[0:1], v[26:27]
	s_delay_alu instid0(VALU_DEP_1)
	v_add_f64_e32 v[0:1], v[0:1], v[36:37]
	ds_store_2addr_b64 v6, v[81:82], v[52:53] offset0:12 offset1:18
	ds_store_2addr_b64 v6, v[83:84], v[14:15] offset0:24 offset1:30
	ds_store_2addr_b64 v6, v[10:11], v[8:9] offset0:36 offset1:42
	ds_store_2addr_b64 v6, v[12:13], v[38:39] offset0:48 offset1:54
	ds_store_2addr_b64 v6, v[85:86], v[87:88] offset0:60 offset1:66
	ds_store_2addr_b64 v6, v[0:1], v[2:3] offset1:6
	ds_store_b64 v6, v[4:5] offset:576
.LBB0_24:
	s_wait_alu 0xfffe
	s_or_b32 exec_lo, exec_lo, s1
	v_add_nc_u32_e32 v83, 0x400, v74
	v_add_nc_u32_e32 v81, 0x800, v74
	;; [unrolled: 1-line block ×3, first 2 shown]
	global_wb scope:SCOPE_SE
	s_wait_dscnt 0x0
	s_barrier_signal -1
	s_barrier_wait -1
	global_inv scope:SCOPE_SE
	ds_load_2addr_b64 v[0:3], v74 offset0:78 offset1:156
	ds_load_2addr_b64 v[4:7], v83 offset0:106 offset1:184
	;; [unrolled: 1-line block ×4, first 2 shown]
	ds_load_b64 v[38:39], v75
	ds_load_b64 v[52:53], v74 offset:5616
	global_wb scope:SCOPE_SE
	s_wait_dscnt 0x0
	s_barrier_signal -1
	s_barrier_wait -1
	global_inv scope:SCOPE_SE
	s_and_saveexec_b32 s33, s0
	s_cbranch_execz .LBB0_26
; %bb.25:
	v_add_f64_e32 v[84:85], v[48:49], v[67:68]
	v_add_f64_e64 v[36:37], v[71:72], -v[36:37]
	s_mov_b32 s24, 0x42a4c3d2
	s_mov_b32 s28, 0x66966769
	;; [unrolled: 1-line block ×11, first 2 shown]
	v_add_f64_e64 v[26:27], v[69:70], -v[26:27]
	v_add_f64_e32 v[67:68], v[67:68], v[16:17]
	s_mov_b32 s21, 0xbfcea1e5
	s_mov_b32 s0, 0xe00740e9
	;; [unrolled: 1-line block ×11, first 2 shown]
	s_wait_alu 0xfffe
	s_mov_b32 s30, s14
	s_mov_b32 s26, s28
	;; [unrolled: 1-line block ×5, first 2 shown]
	v_add_f64_e64 v[63:64], v[63:64], -v[65:66]
	s_mov_b32 s23, 0xbfef11f4
	s_mov_b32 s35, 0x3fedeba7
	;; [unrolled: 1-line block ×3, first 2 shown]
	v_add_f64_e64 v[42:43], v[54:55], -v[42:43]
	s_mov_b32 s37, 0x3fcea1e5
	s_mov_b32 s36, s20
	v_add_f64_e32 v[84:85], v[84:85], v[58:59]
	v_mul_f64_e32 v[69:70], s[10:11], v[36:37]
	v_mul_f64_e32 v[86:87], s[28:29], v[36:37]
	;; [unrolled: 1-line block ×4, first 2 shown]
	s_mov_b32 s11, 0x3fddbe06
	v_add_f64_e32 v[58:59], v[58:59], v[18:19]
	v_add_f64_e64 v[44:45], v[44:45], -v[46:47]
	v_add_f64_e64 v[30:31], v[32:33], -v[30:31]
	v_mul_f64_e32 v[65:66], s[24:25], v[26:27]
	v_mul_f64_e32 v[92:93], s[12:13], v[26:27]
	;; [unrolled: 1-line block ×3, first 2 shown]
	s_wait_alu 0xfffe
	v_mul_f64_e32 v[96:97], s[30:31], v[26:27]
	v_mul_f64_e32 v[98:99], s[26:27], v[26:27]
	;; [unrolled: 1-line block ×7, first 2 shown]
	s_mov_b32 s35, 0x3fea55e2
	s_mov_b32 s34, s24
	v_mul_f64_e32 v[46:47], s[12:13], v[42:43]
	v_add_f64_e32 v[84:85], v[84:85], v[56:57]
	v_fma_f64 v[100:101], v[67:68], s[0:1], v[69:70]
	v_fma_f64 v[104:105], v[67:68], s[2:3], v[86:87]
	;; [unrolled: 1-line block ×3, first 2 shown]
	v_fma_f64 v[88:89], v[67:68], s[16:17], -v[88:89]
	v_fma_f64 v[108:109], v[67:68], s[18:19], v[90:91]
	v_fma_f64 v[90:91], v[67:68], s[18:19], -v[90:91]
	v_fma_f64 v[86:87], v[67:68], s[2:3], -v[86:87]
	v_add_f64_e32 v[56:57], v[56:57], v[20:21]
	v_mul_f64_e32 v[130:131], s[36:37], v[42:43]
	s_wait_alu 0xfffe
	v_mul_f64_e32 v[132:133], s[34:35], v[42:43]
	v_mul_f64_e32 v[32:33], s[14:15], v[44:45]
	v_fma_f64 v[118:119], v[58:59], s[6:7], v[65:66]
	v_fma_f64 v[65:66], v[58:59], s[6:7], -v[65:66]
	v_fma_f64 v[120:121], v[58:59], s[16:17], v[92:93]
	v_fma_f64 v[92:93], v[58:59], s[16:17], -v[92:93]
	;; [unrolled: 2-line block ×6, first 2 shown]
	v_add_f64_e32 v[71:72], v[84:85], v[50:51]
	v_mul_f64_e32 v[84:85], s[24:25], v[36:37]
	v_mul_f64_e32 v[36:37], s[20:21], v[36:37]
	v_add_f64_e32 v[58:59], v[48:49], v[100:101]
	v_add_f64_e32 v[88:89], v[48:49], v[88:89]
	;; [unrolled: 1-line block ×5, first 2 shown]
	v_fma_f64 v[134:135], v[56:57], s[2:3], v[54:55]
	v_fma_f64 v[54:55], v[56:57], s[2:3], -v[54:55]
	v_fma_f64 v[138:139], v[56:57], s[16:17], v[112:113]
	v_fma_f64 v[112:113], v[56:57], s[16:17], -v[112:113]
	;; [unrolled: 2-line block ×4, first 2 shown]
	v_add_f64_e32 v[71:72], v[71:72], v[34:35]
	v_fma_f64 v[102:103], v[67:68], s[6:7], v[84:85]
	v_fma_f64 v[84:85], v[67:68], s[6:7], -v[84:85]
	v_fma_f64 v[110:111], v[67:68], s[22:23], v[36:37]
	v_fma_f64 v[36:37], v[67:68], s[22:23], -v[36:37]
	v_fma_f64 v[67:68], v[67:68], s[0:1], -v[69:70]
	v_mul_f64_e32 v[69:70], s[20:21], v[63:64]
	v_mul_f64_e32 v[63:64], s[10:11], v[63:64]
	v_add_f64_e32 v[58:59], v[118:119], v[58:59]
	v_add_f64_e32 v[88:89], v[96:97], v[88:89]
	;; [unrolled: 1-line block ×4, first 2 shown]
	v_mul_f64_e32 v[94:95], s[12:13], v[44:45]
	v_fma_f64 v[118:119], v[50:51], s[22:23], -v[130:131]
	v_add_f64_e32 v[71:72], v[71:72], v[22:23]
	v_add_f64_e32 v[100:101], v[48:49], v[102:103]
	v_add_f64_e32 v[84:85], v[48:49], v[84:85]
	v_add_f64_e32 v[102:103], v[48:49], v[104:105]
	v_add_f64_e32 v[104:105], v[48:49], v[106:107]
	v_add_f64_e32 v[106:107], v[48:49], v[108:109]
	v_add_f64_e32 v[108:109], v[48:49], v[110:111]
	v_add_f64_e32 v[36:37], v[48:49], v[36:37]
	v_add_f64_e32 v[48:49], v[48:49], v[67:68]
	v_mul_f64_e32 v[67:68], s[30:31], v[42:43]
	v_mul_f64_e32 v[110:111], s[28:29], v[42:43]
	;; [unrolled: 1-line block ×3, first 2 shown]
	v_fma_f64 v[136:137], v[56:57], s[22:23], v[69:70]
	v_fma_f64 v[69:70], v[56:57], s[22:23], -v[69:70]
	v_fma_f64 v[144:145], v[56:57], s[0:1], v[63:64]
	v_fma_f64 v[56:57], v[56:57], s[0:1], -v[63:64]
	v_add_f64_e32 v[86:87], v[112:113], v[86:87]
	v_add_f64_e32 v[22:23], v[22:23], v[28:29]
	;; [unrolled: 1-line block ×12, first 2 shown]
	v_mul_f64_e32 v[65:66], s[24:25], v[44:45]
	v_mul_f64_e32 v[90:91], s[36:37], v[44:45]
	v_fma_f64 v[98:99], v[50:51], s[16:17], v[46:47]
	v_fma_f64 v[46:47], v[50:51], s[16:17], -v[46:47]
	v_fma_f64 v[104:105], v[50:51], s[18:19], v[67:68]
	v_fma_f64 v[67:68], v[50:51], s[18:19], -v[67:68]
	;; [unrolled: 2-line block ×3, first 2 shown]
	v_fma_f64 v[110:111], v[50:51], s[22:23], v[130:131]
	v_fma_f64 v[120:121], v[50:51], s[6:7], v[132:133]
	v_fma_f64 v[122:123], v[50:51], s[6:7], -v[132:133]
	v_fma_f64 v[124:125], v[50:51], s[0:1], v[42:43]
	v_fma_f64 v[42:43], v[50:51], s[0:1], -v[42:43]
	v_add_f64_e32 v[50:51], v[134:135], v[58:59]
	v_add_f64_e32 v[56:57], v[56:57], v[88:89]
	v_mul_f64_e32 v[28:29], s[20:21], v[30:31]
	v_fma_f64 v[126:127], v[34:35], s[16:17], v[94:95]
	v_fma_f64 v[94:95], v[34:35], s[16:17], -v[94:95]
	v_add_f64_e32 v[71:72], v[71:72], v[40:41]
	v_mul_f64_e32 v[40:41], s[26:27], v[44:45]
	v_mul_f64_e32 v[44:45], s[10:11], v[44:45]
	v_add_f64_e32 v[58:59], v[136:137], v[63:64]
	v_add_f64_e32 v[63:64], v[69:70], v[84:85]
	;; [unrolled: 1-line block ×9, first 2 shown]
	v_mul_f64_e32 v[54:55], s[14:15], v[30:31]
	v_mul_f64_e32 v[96:97], s[12:13], v[30:31]
	;; [unrolled: 1-line block ×3, first 2 shown]
	v_fma_f64 v[102:103], v[34:35], s[18:19], v[32:33]
	v_fma_f64 v[32:33], v[34:35], s[18:19], -v[32:33]
	v_fma_f64 v[114:115], v[34:35], s[6:7], v[65:66]
	v_fma_f64 v[65:66], v[34:35], s[6:7], -v[65:66]
	;; [unrolled: 2-line block ×3, first 2 shown]
	v_add_f64_e32 v[42:43], v[42:43], v[86:87]
	v_add_f64_e32 v[56:57], v[108:109], v[56:57]
	;; [unrolled: 1-line block ×3, first 2 shown]
	v_mul_f64_e32 v[71:72], s[34:35], v[30:31]
	v_mul_f64_e32 v[30:31], s[10:11], v[30:31]
	v_fma_f64 v[112:113], v[34:35], s[2:3], v[40:41]
	v_fma_f64 v[40:41], v[34:35], s[2:3], -v[40:41]
	v_fma_f64 v[128:129], v[34:35], s[0:1], v[44:45]
	v_fma_f64 v[34:35], v[34:35], s[0:1], -v[44:45]
	v_add_f64_e32 v[44:45], v[98:99], v[50:51]
	v_add_f64_e32 v[50:51], v[104:105], v[58:59]
	;; [unrolled: 1-line block ×9, first 2 shown]
	v_fma_f64 v[88:89], v[22:23], s[16:17], v[96:97]
	v_fma_f64 v[92:93], v[22:23], s[16:17], -v[96:97]
	v_fma_f64 v[96:97], v[22:23], s[2:3], v[100:101]
	v_fma_f64 v[98:99], v[22:23], s[2:3], -v[100:101]
	v_add_f64_e32 v[56:57], v[90:91], v[56:57]
	v_add_f64_e32 v[20:21], v[24:25], v[20:21]
	;; [unrolled: 1-line block ×3, first 2 shown]
	v_fma_f64 v[46:47], v[22:23], s[22:23], v[28:29]
	v_fma_f64 v[28:29], v[22:23], s[22:23], -v[28:29]
	v_fma_f64 v[48:49], v[22:23], s[18:19], v[54:55]
	v_fma_f64 v[54:55], v[22:23], s[18:19], -v[54:55]
	;; [unrolled: 2-line block ×4, first 2 shown]
	v_add_f64_e32 v[30:31], v[102:103], v[44:45]
	v_add_f64_e32 v[44:45], v[112:113], v[50:51]
	;; [unrolled: 1-line block ×25, first 2 shown]
	v_mad_u32_u24 v20, 0x270, v79, 0
	s_delay_alu instid0(VALU_DEP_1)
	v_add3_u32 v20, v20, v80, v78
	ds_store_2addr_b64 v20, v[30:31], v[32:33] offset0:12 offset1:18
	ds_store_2addr_b64 v20, v[40:41], v[44:45] offset0:24 offset1:30
	ds_store_2addr_b64 v20, v[46:47], v[26:27] offset0:36 offset1:42
	ds_store_2addr_b64 v20, v[34:35], v[42:43] offset0:48 offset1:54
	ds_store_2addr_b64 v20, v[36:37], v[22:23] offset0:60 offset1:66
	ds_store_2addr_b64 v20, v[16:17], v[24:25] offset1:6
	ds_store_b64 v20, v[18:19] offset:576
.LBB0_26:
	s_or_b32 exec_lo, exec_lo, s33
	v_dual_mov_b32 v17, 0 :: v_dual_lshlrev_b32 v16, 2, v62
	global_wb scope:SCOPE_SE
	s_wait_dscnt 0x0
	s_barrier_signal -1
	s_barrier_wait -1
	global_inv scope:SCOPE_SE
	v_lshlrev_b64_e32 v[18:19], 4, v[16:17]
	s_mov_b32 s3, 0xbfee6f0e
	s_mov_b32 s6, 0x4755a5e
	;; [unrolled: 1-line block ×4, first 2 shown]
	s_wait_alu 0xfffe
	s_mov_b32 s10, s6
	v_add_co_u32 v30, s0, s4, v18
	s_wait_alu 0xf1ff
	v_add_co_ci_u32_e64 v31, s0, s5, v19, s0
	s_mov_b32 s0, 0x134454ff
	s_mov_b32 s1, 0x3fee6f0e
	s_clause 0x3
	global_load_b128 v[18:21], v[30:31], off offset:1232
	global_load_b128 v[22:25], v[30:31], off offset:1248
	;; [unrolled: 1-line block ×4, first 2 shown]
	ds_load_2addr_b64 v[34:37], v83 offset0:106 offset1:184
	ds_load_2addr_b64 v[40:43], v81 offset0:134 offset1:212
	ds_load_2addr_b64 v[44:47], v74 offset0:78 offset1:156
	ds_load_2addr_b64 v[48:51], v82 offset0:34 offset1:112
	ds_load_b64 v[54:55], v74 offset:5616
	s_wait_alu 0xfffe
	s_mov_b32 s2, s0
	v_add_nc_u32_e32 v16, 0xc00, v74
	s_wait_loadcnt_dscnt 0x304
	v_mul_f64_e32 v[56:57], v[36:37], v[20:21]
	s_wait_loadcnt_dscnt 0x203
	v_mul_f64_e32 v[58:59], v[42:43], v[24:25]
	s_wait_loadcnt_dscnt 0x102
	v_mul_f64_e32 v[63:64], v[46:47], v[28:29]
	s_wait_loadcnt_dscnt 0x1
	v_mul_f64_e32 v[65:66], v[50:51], v[32:33]
	v_mul_f64_e32 v[67:68], v[40:41], v[20:21]
	v_mul_f64_e32 v[69:70], v[48:49], v[24:25]
	v_mul_f64_e32 v[71:72], v[34:35], v[28:29]
	s_wait_dscnt 0x0
	v_mul_f64_e32 v[78:79], v[54:55], v[32:33]
	v_mul_f64_e32 v[84:85], v[6:7], v[20:21]
	;; [unrolled: 1-line block ×9, first 2 shown]
	v_fma_f64 v[6:7], v[6:7], v[18:19], -v[56:57]
	v_fma_f64 v[10:11], v[10:11], v[22:23], -v[58:59]
	;; [unrolled: 1-line block ×8, first 2 shown]
	v_fma_f64 v[36:37], v[36:37], v[18:19], v[84:85]
	v_fma_f64 v[42:43], v[42:43], v[22:23], v[86:87]
	;; [unrolled: 1-line block ×8, first 2 shown]
	ds_load_b64 v[56:57], v75
	global_wb scope:SCOPE_SE
	s_wait_dscnt 0x0
	s_barrier_signal -1
	s_barrier_wait -1
	global_inv scope:SCOPE_SE
	v_add_f64_e32 v[26:27], v[6:7], v[10:11]
	v_add_f64_e32 v[58:59], v[38:39], v[2:3]
	;; [unrolled: 1-line block ×3, first 2 shown]
	v_add_f64_e64 v[71:72], v[14:15], -v[10:11]
	v_add_f64_e32 v[30:31], v[8:9], v[12:13]
	v_add_f64_e32 v[65:66], v[0:1], v[4:5]
	;; [unrolled: 1-line block ×3, first 2 shown]
	v_add_f64_e64 v[78:79], v[6:7], -v[2:3]
	v_add_f64_e32 v[34:35], v[36:37], v[42:43]
	v_add_f64_e64 v[67:68], v[36:37], -v[42:43]
	v_add_f64_e32 v[40:41], v[46:47], v[50:51]
	;; [unrolled: 2-line block ×4, first 2 shown]
	v_add_f64_e32 v[86:87], v[56:57], v[46:47]
	v_add_f64_e32 v[88:89], v[44:45], v[22:23]
	v_add_f64_e64 v[90:91], v[6:7], -v[10:11]
	v_add_f64_e64 v[92:93], v[8:9], -v[12:13]
	;; [unrolled: 1-line block ×12, first 2 shown]
	v_fma_f64 v[26:27], v[26:27], -0.5, v[38:39]
	v_fma_f64 v[28:29], v[28:29], -0.5, v[38:39]
	v_add_f64_e64 v[38:39], v[22:23], -v[24:25]
	v_fma_f64 v[30:31], v[30:31], -0.5, v[0:1]
	v_add_f64_e64 v[22:23], v[18:19], -v[22:23]
	;; [unrolled: 2-line block ×3, first 2 shown]
	v_add_f64_e64 v[2:3], v[2:3], -v[14:15]
	v_fma_f64 v[34:35], v[34:35], -0.5, v[56:57]
	v_fma_f64 v[40:41], v[40:41], -0.5, v[56:57]
	v_add_f64_e64 v[56:57], v[4:5], -v[52:53]
	v_fma_f64 v[48:49], v[48:49], -0.5, v[44:45]
	v_add_f64_e32 v[6:7], v[58:59], v[6:7]
	v_fma_f64 v[44:45], v[54:55], -0.5, v[44:45]
	v_add_f64_e64 v[54:55], v[4:5], -v[8:9]
	v_add_f64_e64 v[4:5], v[8:9], -v[4:5]
	v_add_f64_e32 v[8:9], v[65:66], v[8:9]
	v_add_f64_e32 v[36:37], v[86:87], v[36:37]
	v_add_f64_e32 v[18:19], v[88:89], v[18:19]
	v_add_f64_e32 v[78:79], v[78:79], v[84:85]
	v_add_f64_e32 v[46:47], v[46:47], v[106:107]
	v_fma_f64 v[58:59], v[63:64], s[0:1], v[26:27]
	s_wait_alu 0xfffe
	v_fma_f64 v[26:27], v[63:64], s[2:3], v[26:27]
	v_fma_f64 v[65:66], v[67:68], s[2:3], v[28:29]
	;; [unrolled: 1-line block ×7, first 2 shown]
	v_add_f64_e32 v[32:33], v[32:33], v[71:72]
	v_fma_f64 v[71:72], v[2:3], s[2:3], v[34:35]
	v_fma_f64 v[34:35], v[2:3], s[0:1], v[34:35]
	;; [unrolled: 1-line block ×8, first 2 shown]
	v_add_f64_e32 v[6:7], v[6:7], v[10:11]
	v_add_f64_e32 v[8:9], v[8:9], v[12:13]
	;; [unrolled: 1-line block ×7, first 2 shown]
	s_mov_b32 s0, 0x372fe950
	s_mov_b32 s1, 0x3fd3c6ef
	v_fma_f64 v[10:11], v[67:68], s[6:7], v[58:59]
	v_fma_f64 v[12:13], v[67:68], s[10:11], v[26:27]
	;; [unrolled: 1-line block ×8, first 2 shown]
	v_add_f64_e32 v[38:39], v[102:103], v[104:105]
	v_fma_f64 v[20:21], v[90:91], s[10:11], v[71:72]
	v_fma_f64 v[34:35], v[90:91], s[6:7], v[34:35]
	v_fma_f64 v[42:43], v[2:3], s[10:11], v[86:87]
	v_fma_f64 v[2:3], v[2:3], s[6:7], v[40:41]
	v_add_f64_e32 v[65:66], v[108:109], v[110:111]
	v_fma_f64 v[40:41], v[92:93], s[10:11], v[88:89]
	v_fma_f64 v[48:49], v[92:93], s[6:7], v[48:49]
	;; [unrolled: 1-line block ×4, first 2 shown]
	v_add_f64_e32 v[6:7], v[6:7], v[14:15]
	v_add_f64_e32 v[8:9], v[8:9], v[52:53]
	;; [unrolled: 1-line block ×4, first 2 shown]
	s_wait_alu 0xfffe
	v_fma_f64 v[10:11], v[32:33], s[0:1], v[10:11]
	v_fma_f64 v[12:13], v[32:33], s[0:1], v[12:13]
	;; [unrolled: 1-line block ×8, first 2 shown]
	ds_store_2addr_b64 v74, v[6:7], v[10:11] offset1:78
	ds_store_2addr_b64 v74, v[14:15], v[26:27] offset0:156 offset1:234
	ds_store_2addr_b64 v81, v[12:13], v[8:9] offset0:56 offset1:134
	;; [unrolled: 1-line block ×4, first 2 shown]
	v_fma_f64 v[50:51], v[38:39], s[0:1], v[20:21]
	v_fma_f64 v[34:35], v[38:39], s[0:1], v[34:35]
	;; [unrolled: 1-line block ×8, first 2 shown]
	global_wb scope:SCOPE_SE
	s_wait_dscnt 0x0
	s_barrier_signal -1
	s_barrier_wait -1
	global_inv scope:SCOPE_SE
	ds_load_2addr_b64 v[12:15], v81 offset0:134 offset1:212
	ds_load_2addr_b64 v[4:7], v74 offset0:78 offset1:156
	ds_load_2addr_b64 v[8:11], v82 offset0:34 offset1:112
	ds_load_2addr_b64 v[0:3], v83 offset0:106 offset1:184
	ds_load_b64 v[18:19], v75
	ds_load_b64 v[20:21], v74 offset:5616
	global_wb scope:SCOPE_SE
	s_wait_dscnt 0x0
	s_barrier_signal -1
	s_barrier_wait -1
	global_inv scope:SCOPE_SE
	ds_store_2addr_b64 v74, v[36:37], v[50:51] offset1:78
	ds_store_2addr_b64 v74, v[38:39], v[42:43] offset0:156 offset1:234
	ds_store_2addr_b64 v81, v[34:35], v[24:25] offset0:56 offset1:134
	;; [unrolled: 1-line block ×4, first 2 shown]
	global_wb scope:SCOPE_SE
	s_wait_dscnt 0x0
	s_barrier_signal -1
	s_barrier_wait -1
	global_inv scope:SCOPE_SE
	s_and_saveexec_b32 s0, vcc_lo
	s_cbranch_execz .LBB0_28
; %bb.27:
	v_dual_mov_b32 v63, v17 :: v_dual_add_nc_u32 v16, 0x800, v74
	v_add_nc_u32_e32 v46, 0x1000, v74
	s_delay_alu instid0(VALU_DEP_2) | instskip(NEXT) | instid1(VALU_DEP_1)
	v_lshlrev_b64_e32 v[50:51], 4, v[62:63]
	v_add_co_u32 v38, vcc_lo, s4, v50
	s_wait_alu 0xfffd
	s_delay_alu instid0(VALU_DEP_2)
	v_add_co_ci_u32_e32 v39, vcc_lo, s5, v51, vcc_lo
	s_clause 0x4
	global_load_b128 v[22:25], v[38:39], off offset:8704
	global_load_b128 v[26:29], v[38:39], off offset:7456
	;; [unrolled: 1-line block ×5, first 2 shown]
	ds_load_2addr_b64 v[42:45], v16 offset0:134 offset1:212
	ds_load_2addr_b64 v[46:49], v46 offset0:34 offset1:112
	ds_load_b64 v[52:53], v74 offset:5616
	ds_load_b64 v[54:55], v75
	v_mul_hi_u32 v16, 0xa80a80a9, v77
	s_delay_alu instid0(VALU_DEP_1) | instskip(NEXT) | instid1(VALU_DEP_1)
	v_lshrrev_b32_e32 v16, 7, v16
	v_mul_u32_u24_e32 v16, 0x186, v16
	s_wait_loadcnt 0x4
	v_mul_f64_e32 v[56:57], v[8:9], v[24:25]
	s_wait_loadcnt 0x3
	v_mul_f64_e32 v[58:59], v[14:15], v[28:29]
	;; [unrolled: 2-line block ×3, first 2 shown]
	s_wait_dscnt 0x3
	v_mul_f64_e32 v[32:33], v[42:43], v[32:33]
	v_mul_f64_e32 v[28:29], v[44:45], v[28:29]
	s_wait_dscnt 0x2
	v_mul_f64_e32 v[24:25], v[46:47], v[24:25]
	s_wait_loadcnt 0x1
	v_mul_f64_e32 v[64:65], v[10:11], v[36:37]
	v_mul_f64_e32 v[36:37], v[48:49], v[36:37]
	s_wait_loadcnt 0x0
	v_mul_f64_e32 v[66:67], v[20:21], v[40:41]
	s_wait_dscnt 0x1
	v_mul_f64_e32 v[40:41], v[52:53], v[40:41]
	v_fma_f64 v[46:47], v[46:47], v[22:23], v[56:57]
	v_fma_f64 v[44:45], v[44:45], v[26:27], v[58:59]
	;; [unrolled: 1-line block ×3, first 2 shown]
	v_fma_f64 v[32:33], v[12:13], v[30:31], -v[32:33]
	v_fma_f64 v[56:57], v[14:15], v[26:27], -v[28:29]
	;; [unrolled: 1-line block ×3, first 2 shown]
	v_fma_f64 v[48:49], v[48:49], v[34:35], v[64:65]
	v_fma_f64 v[36:37], v[10:11], v[34:35], -v[36:37]
	v_fma_f64 v[52:53], v[52:53], v[38:39], v[66:67]
	v_fma_f64 v[40:41], v[20:21], v[38:39], -v[40:41]
	v_add_nc_u32_e32 v12, 0x400, v74
	ds_load_2addr_b64 v[8:11], v74 offset0:78 offset1:156
	ds_load_2addr_b64 v[12:15], v12 offset0:106 offset1:184
	s_wait_dscnt 0x1
	v_add_f64_e64 v[22:23], v[10:11], -v[46:47]
	v_add_f64_e64 v[26:27], v[8:9], -v[44:45]
	;; [unrolled: 1-line block ×6, first 2 shown]
	s_wait_dscnt 0x0
	v_add_f64_e64 v[34:35], v[12:13], -v[48:49]
	v_add_f64_e64 v[32:33], v[0:1], -v[36:37]
	;; [unrolled: 1-line block ×4, first 2 shown]
	v_lshrrev_b32_e32 v40, 1, v73
	v_mul_hi_u32 v48, 0xa80a80a9, v76
	s_delay_alu instid0(VALU_DEP_2)
	v_mul_hi_u32 v49, 0xa80a80a9, v40
	v_fma_f64 v[10:11], v[10:11], 2.0, -v[22:23]
	v_fma_f64 v[42:43], v[8:9], 2.0, -v[26:27]
	;; [unrolled: 1-line block ×10, first 2 shown]
	v_lshrrev_b32_e32 v2, 7, v48
	v_add_co_u32 v3, vcc_lo, s8, v60
	s_wait_alu 0xfffd
	v_add_co_ci_u32_e32 v18, vcc_lo, s9, v61, vcc_lo
	v_lshrrev_b32_e32 v48, 7, v49
	v_lshlrev_b64_e32 v[0:1], 4, v[16:17]
	v_mul_u32_u24_e32 v16, 0x186, v2
	v_add_co_u32 v2, vcc_lo, v3, v50
	s_wait_alu 0xfffd
	v_add_co_ci_u32_e32 v3, vcc_lo, v18, v51, vcc_lo
	s_delay_alu instid0(VALU_DEP_3) | instskip(SKIP_4) | instid1(VALU_DEP_3)
	v_lshlrev_b64_e32 v[18:19], 4, v[16:17]
	v_mul_u32_u24_e32 v16, 0x186, v48
	v_add_co_u32 v0, vcc_lo, v2, v0
	s_wait_alu 0xfffd
	v_add_co_ci_u32_e32 v1, vcc_lo, v3, v1, vcc_lo
	v_lshlrev_b64_e32 v[16:17], 4, v[16:17]
	v_add_co_u32 v18, vcc_lo, v2, v18
	s_wait_alu 0xfffd
	v_add_co_ci_u32_e32 v19, vcc_lo, v3, v19, vcc_lo
	s_delay_alu instid0(VALU_DEP_3)
	v_add_co_u32 v16, vcc_lo, v2, v16
	s_wait_alu 0xfffd
	v_add_co_ci_u32_e32 v17, vcc_lo, v3, v17, vcc_lo
	s_clause 0x9
	global_store_b128 v[2:3], v[28:31], off offset:6240
	global_store_b128 v[2:3], v[24:27], off offset:7488
	global_store_b128 v[2:3], v[44:47], off
	global_store_b128 v[2:3], v[40:43], off offset:1248
	global_store_b128 v[0:1], v[8:11], off offset:2496
	;; [unrolled: 1-line block ×7, first 2 shown]
.LBB0_28:
	s_nop 0
	s_sendmsg sendmsg(MSG_DEALLOC_VGPRS)
	s_endpgm
	.section	.rodata,"a",@progbits
	.p2align	6, 0x0
	.amdhsa_kernel fft_rtc_fwd_len780_factors_2_3_13_5_2_wgs_234_tpt_78_halfLds_dp_ip_CI_unitstride_sbrr_dirReg
		.amdhsa_group_segment_fixed_size 0
		.amdhsa_private_segment_fixed_size 0
		.amdhsa_kernarg_size 88
		.amdhsa_user_sgpr_count 2
		.amdhsa_user_sgpr_dispatch_ptr 0
		.amdhsa_user_sgpr_queue_ptr 0
		.amdhsa_user_sgpr_kernarg_segment_ptr 1
		.amdhsa_user_sgpr_dispatch_id 0
		.amdhsa_user_sgpr_private_segment_size 0
		.amdhsa_wavefront_size32 1
		.amdhsa_uses_dynamic_stack 0
		.amdhsa_enable_private_segment 0
		.amdhsa_system_sgpr_workgroup_id_x 1
		.amdhsa_system_sgpr_workgroup_id_y 0
		.amdhsa_system_sgpr_workgroup_id_z 0
		.amdhsa_system_sgpr_workgroup_info 0
		.amdhsa_system_vgpr_workitem_id 0
		.amdhsa_next_free_vgpr 159
		.amdhsa_next_free_sgpr 38
		.amdhsa_reserve_vcc 1
		.amdhsa_float_round_mode_32 0
		.amdhsa_float_round_mode_16_64 0
		.amdhsa_float_denorm_mode_32 3
		.amdhsa_float_denorm_mode_16_64 3
		.amdhsa_fp16_overflow 0
		.amdhsa_workgroup_processor_mode 1
		.amdhsa_memory_ordered 1
		.amdhsa_forward_progress 0
		.amdhsa_round_robin_scheduling 0
		.amdhsa_exception_fp_ieee_invalid_op 0
		.amdhsa_exception_fp_denorm_src 0
		.amdhsa_exception_fp_ieee_div_zero 0
		.amdhsa_exception_fp_ieee_overflow 0
		.amdhsa_exception_fp_ieee_underflow 0
		.amdhsa_exception_fp_ieee_inexact 0
		.amdhsa_exception_int_div_zero 0
	.end_amdhsa_kernel
	.text
.Lfunc_end0:
	.size	fft_rtc_fwd_len780_factors_2_3_13_5_2_wgs_234_tpt_78_halfLds_dp_ip_CI_unitstride_sbrr_dirReg, .Lfunc_end0-fft_rtc_fwd_len780_factors_2_3_13_5_2_wgs_234_tpt_78_halfLds_dp_ip_CI_unitstride_sbrr_dirReg
                                        ; -- End function
	.section	.AMDGPU.csdata,"",@progbits
; Kernel info:
; codeLenInByte = 9508
; NumSgprs: 40
; NumVgprs: 159
; ScratchSize: 0
; MemoryBound: 1
; FloatMode: 240
; IeeeMode: 1
; LDSByteSize: 0 bytes/workgroup (compile time only)
; SGPRBlocks: 4
; VGPRBlocks: 19
; NumSGPRsForWavesPerEU: 40
; NumVGPRsForWavesPerEU: 159
; Occupancy: 9
; WaveLimiterHint : 1
; COMPUTE_PGM_RSRC2:SCRATCH_EN: 0
; COMPUTE_PGM_RSRC2:USER_SGPR: 2
; COMPUTE_PGM_RSRC2:TRAP_HANDLER: 0
; COMPUTE_PGM_RSRC2:TGID_X_EN: 1
; COMPUTE_PGM_RSRC2:TGID_Y_EN: 0
; COMPUTE_PGM_RSRC2:TGID_Z_EN: 0
; COMPUTE_PGM_RSRC2:TIDIG_COMP_CNT: 0
	.text
	.p2alignl 7, 3214868480
	.fill 96, 4, 3214868480
	.type	__hip_cuid_be4a82f4008caa9b,@object ; @__hip_cuid_be4a82f4008caa9b
	.section	.bss,"aw",@nobits
	.globl	__hip_cuid_be4a82f4008caa9b
__hip_cuid_be4a82f4008caa9b:
	.byte	0                               ; 0x0
	.size	__hip_cuid_be4a82f4008caa9b, 1

	.ident	"AMD clang version 19.0.0git (https://github.com/RadeonOpenCompute/llvm-project roc-6.4.0 25133 c7fe45cf4b819c5991fe208aaa96edf142730f1d)"
	.section	".note.GNU-stack","",@progbits
	.addrsig
	.addrsig_sym __hip_cuid_be4a82f4008caa9b
	.amdgpu_metadata
---
amdhsa.kernels:
  - .args:
      - .actual_access:  read_only
        .address_space:  global
        .offset:         0
        .size:           8
        .value_kind:     global_buffer
      - .offset:         8
        .size:           8
        .value_kind:     by_value
      - .actual_access:  read_only
        .address_space:  global
        .offset:         16
        .size:           8
        .value_kind:     global_buffer
      - .actual_access:  read_only
        .address_space:  global
        .offset:         24
        .size:           8
        .value_kind:     global_buffer
      - .offset:         32
        .size:           8
        .value_kind:     by_value
      - .actual_access:  read_only
        .address_space:  global
        .offset:         40
        .size:           8
        .value_kind:     global_buffer
      - .actual_access:  read_only
        .address_space:  global
        .offset:         48
        .size:           8
        .value_kind:     global_buffer
      - .offset:         56
        .size:           4
        .value_kind:     by_value
      - .actual_access:  read_only
        .address_space:  global
        .offset:         64
        .size:           8
        .value_kind:     global_buffer
      - .actual_access:  read_only
        .address_space:  global
        .offset:         72
        .size:           8
        .value_kind:     global_buffer
      - .address_space:  global
        .offset:         80
        .size:           8
        .value_kind:     global_buffer
    .group_segment_fixed_size: 0
    .kernarg_segment_align: 8
    .kernarg_segment_size: 88
    .language:       OpenCL C
    .language_version:
      - 2
      - 0
    .max_flat_workgroup_size: 234
    .name:           fft_rtc_fwd_len780_factors_2_3_13_5_2_wgs_234_tpt_78_halfLds_dp_ip_CI_unitstride_sbrr_dirReg
    .private_segment_fixed_size: 0
    .sgpr_count:     40
    .sgpr_spill_count: 0
    .symbol:         fft_rtc_fwd_len780_factors_2_3_13_5_2_wgs_234_tpt_78_halfLds_dp_ip_CI_unitstride_sbrr_dirReg.kd
    .uniform_work_group_size: 1
    .uses_dynamic_stack: false
    .vgpr_count:     159
    .vgpr_spill_count: 0
    .wavefront_size: 32
    .workgroup_processor_mode: 1
amdhsa.target:   amdgcn-amd-amdhsa--gfx1201
amdhsa.version:
  - 1
  - 2
...

	.end_amdgpu_metadata
